;; amdgpu-corpus repo=ROCm/rocFFT kind=compiled arch=gfx1030 opt=O3
	.text
	.amdgcn_target "amdgcn-amd-amdhsa--gfx1030"
	.amdhsa_code_object_version 6
	.protected	fft_rtc_fwd_len560_factors_8_7_5_2_wgs_56_tpt_56_dp_ip_CI_unitstride_sbrr_C2R_dirReg ; -- Begin function fft_rtc_fwd_len560_factors_8_7_5_2_wgs_56_tpt_56_dp_ip_CI_unitstride_sbrr_C2R_dirReg
	.globl	fft_rtc_fwd_len560_factors_8_7_5_2_wgs_56_tpt_56_dp_ip_CI_unitstride_sbrr_C2R_dirReg
	.p2align	8
	.type	fft_rtc_fwd_len560_factors_8_7_5_2_wgs_56_tpt_56_dp_ip_CI_unitstride_sbrr_C2R_dirReg,@function
fft_rtc_fwd_len560_factors_8_7_5_2_wgs_56_tpt_56_dp_ip_CI_unitstride_sbrr_C2R_dirReg: ; @fft_rtc_fwd_len560_factors_8_7_5_2_wgs_56_tpt_56_dp_ip_CI_unitstride_sbrr_C2R_dirReg
; %bb.0:
	s_clause 0x2
	s_load_dwordx4 s[8:11], s[4:5], 0x0
	s_load_dwordx2 s[2:3], s[4:5], 0x50
	s_load_dwordx2 s[12:13], s[4:5], 0x18
	v_mul_u32_u24_e32 v1, 0x493, v0
	v_mov_b32_e32 v3, 0
	v_add_nc_u32_sdwa v5, s6, v1 dst_sel:DWORD dst_unused:UNUSED_PAD src0_sel:DWORD src1_sel:WORD_1
	v_mov_b32_e32 v1, 0
	v_mov_b32_e32 v6, v3
	v_mov_b32_e32 v2, 0
	s_waitcnt lgkmcnt(0)
	v_cmp_lt_u64_e64 s0, s[10:11], 2
	s_and_b32 vcc_lo, exec_lo, s0
	s_cbranch_vccnz .LBB0_8
; %bb.1:
	s_load_dwordx2 s[0:1], s[4:5], 0x10
	v_mov_b32_e32 v1, 0
	s_add_u32 s6, s12, 8
	v_mov_b32_e32 v2, 0
	s_addc_u32 s7, s13, 0
	s_mov_b64 s[16:17], 1
	s_waitcnt lgkmcnt(0)
	s_add_u32 s14, s0, 8
	s_addc_u32 s15, s1, 0
.LBB0_2:                                ; =>This Inner Loop Header: Depth=1
	s_load_dwordx2 s[18:19], s[14:15], 0x0
                                        ; implicit-def: $vgpr7_vgpr8
	s_mov_b32 s0, exec_lo
	s_waitcnt lgkmcnt(0)
	v_or_b32_e32 v4, s19, v6
	v_cmpx_ne_u64_e32 0, v[3:4]
	s_xor_b32 s1, exec_lo, s0
	s_cbranch_execz .LBB0_4
; %bb.3:                                ;   in Loop: Header=BB0_2 Depth=1
	v_cvt_f32_u32_e32 v4, s18
	v_cvt_f32_u32_e32 v7, s19
	s_sub_u32 s0, 0, s18
	s_subb_u32 s20, 0, s19
	v_fmac_f32_e32 v4, 0x4f800000, v7
	v_rcp_f32_e32 v4, v4
	v_mul_f32_e32 v4, 0x5f7ffffc, v4
	v_mul_f32_e32 v7, 0x2f800000, v4
	v_trunc_f32_e32 v7, v7
	v_fmac_f32_e32 v4, 0xcf800000, v7
	v_cvt_u32_f32_e32 v7, v7
	v_cvt_u32_f32_e32 v4, v4
	v_mul_lo_u32 v8, s0, v7
	v_mul_hi_u32 v9, s0, v4
	v_mul_lo_u32 v10, s20, v4
	v_add_nc_u32_e32 v8, v9, v8
	v_mul_lo_u32 v9, s0, v4
	v_add_nc_u32_e32 v8, v8, v10
	v_mul_hi_u32 v10, v4, v9
	v_mul_lo_u32 v11, v4, v8
	v_mul_hi_u32 v12, v4, v8
	v_mul_hi_u32 v13, v7, v9
	v_mul_lo_u32 v9, v7, v9
	v_mul_hi_u32 v14, v7, v8
	v_mul_lo_u32 v8, v7, v8
	v_add_co_u32 v10, vcc_lo, v10, v11
	v_add_co_ci_u32_e32 v11, vcc_lo, 0, v12, vcc_lo
	v_add_co_u32 v9, vcc_lo, v10, v9
	v_add_co_ci_u32_e32 v9, vcc_lo, v11, v13, vcc_lo
	v_add_co_ci_u32_e32 v10, vcc_lo, 0, v14, vcc_lo
	v_add_co_u32 v8, vcc_lo, v9, v8
	v_add_co_ci_u32_e32 v9, vcc_lo, 0, v10, vcc_lo
	v_add_co_u32 v4, vcc_lo, v4, v8
	v_add_co_ci_u32_e32 v7, vcc_lo, v7, v9, vcc_lo
	v_mul_hi_u32 v8, s0, v4
	v_mul_lo_u32 v10, s20, v4
	v_mul_lo_u32 v9, s0, v7
	v_add_nc_u32_e32 v8, v8, v9
	v_mul_lo_u32 v9, s0, v4
	v_add_nc_u32_e32 v8, v8, v10
	v_mul_hi_u32 v10, v4, v9
	v_mul_lo_u32 v11, v4, v8
	v_mul_hi_u32 v12, v4, v8
	v_mul_hi_u32 v13, v7, v9
	v_mul_lo_u32 v9, v7, v9
	v_mul_hi_u32 v14, v7, v8
	v_mul_lo_u32 v8, v7, v8
	v_add_co_u32 v10, vcc_lo, v10, v11
	v_add_co_ci_u32_e32 v11, vcc_lo, 0, v12, vcc_lo
	v_add_co_u32 v9, vcc_lo, v10, v9
	v_add_co_ci_u32_e32 v9, vcc_lo, v11, v13, vcc_lo
	v_add_co_ci_u32_e32 v10, vcc_lo, 0, v14, vcc_lo
	v_add_co_u32 v8, vcc_lo, v9, v8
	v_add_co_ci_u32_e32 v9, vcc_lo, 0, v10, vcc_lo
	v_add_co_u32 v4, vcc_lo, v4, v8
	v_add_co_ci_u32_e32 v11, vcc_lo, v7, v9, vcc_lo
	v_mul_hi_u32 v13, v5, v4
	v_mad_u64_u32 v[9:10], null, v6, v4, 0
	v_mad_u64_u32 v[7:8], null, v5, v11, 0
	;; [unrolled: 1-line block ×3, first 2 shown]
	v_add_co_u32 v4, vcc_lo, v13, v7
	v_add_co_ci_u32_e32 v7, vcc_lo, 0, v8, vcc_lo
	v_add_co_u32 v4, vcc_lo, v4, v9
	v_add_co_ci_u32_e32 v4, vcc_lo, v7, v10, vcc_lo
	v_add_co_ci_u32_e32 v7, vcc_lo, 0, v12, vcc_lo
	v_add_co_u32 v4, vcc_lo, v4, v11
	v_add_co_ci_u32_e32 v9, vcc_lo, 0, v7, vcc_lo
	v_mul_lo_u32 v10, s19, v4
	v_mad_u64_u32 v[7:8], null, s18, v4, 0
	v_mul_lo_u32 v11, s18, v9
	v_sub_co_u32 v7, vcc_lo, v5, v7
	v_add3_u32 v8, v8, v11, v10
	v_sub_nc_u32_e32 v10, v6, v8
	v_subrev_co_ci_u32_e64 v10, s0, s19, v10, vcc_lo
	v_add_co_u32 v11, s0, v4, 2
	v_add_co_ci_u32_e64 v12, s0, 0, v9, s0
	v_sub_co_u32 v13, s0, v7, s18
	v_sub_co_ci_u32_e32 v8, vcc_lo, v6, v8, vcc_lo
	v_subrev_co_ci_u32_e64 v10, s0, 0, v10, s0
	v_cmp_le_u32_e32 vcc_lo, s18, v13
	v_cmp_eq_u32_e64 s0, s19, v8
	v_cndmask_b32_e64 v13, 0, -1, vcc_lo
	v_cmp_le_u32_e32 vcc_lo, s19, v10
	v_cndmask_b32_e64 v14, 0, -1, vcc_lo
	v_cmp_le_u32_e32 vcc_lo, s18, v7
	;; [unrolled: 2-line block ×3, first 2 shown]
	v_cndmask_b32_e64 v15, 0, -1, vcc_lo
	v_cmp_eq_u32_e32 vcc_lo, s19, v10
	v_cndmask_b32_e64 v7, v15, v7, s0
	v_cndmask_b32_e32 v10, v14, v13, vcc_lo
	v_add_co_u32 v13, vcc_lo, v4, 1
	v_add_co_ci_u32_e32 v14, vcc_lo, 0, v9, vcc_lo
	v_cmp_ne_u32_e32 vcc_lo, 0, v10
	v_cndmask_b32_e32 v8, v14, v12, vcc_lo
	v_cndmask_b32_e32 v10, v13, v11, vcc_lo
	v_cmp_ne_u32_e32 vcc_lo, 0, v7
	v_cndmask_b32_e32 v8, v9, v8, vcc_lo
	v_cndmask_b32_e32 v7, v4, v10, vcc_lo
.LBB0_4:                                ;   in Loop: Header=BB0_2 Depth=1
	s_andn2_saveexec_b32 s0, s1
	s_cbranch_execz .LBB0_6
; %bb.5:                                ;   in Loop: Header=BB0_2 Depth=1
	v_cvt_f32_u32_e32 v4, s18
	s_sub_i32 s1, 0, s18
	v_rcp_iflag_f32_e32 v4, v4
	v_mul_f32_e32 v4, 0x4f7ffffe, v4
	v_cvt_u32_f32_e32 v4, v4
	v_mul_lo_u32 v7, s1, v4
	v_mul_hi_u32 v7, v4, v7
	v_add_nc_u32_e32 v4, v4, v7
	v_mul_hi_u32 v4, v5, v4
	v_mul_lo_u32 v7, v4, s18
	v_add_nc_u32_e32 v8, 1, v4
	v_sub_nc_u32_e32 v7, v5, v7
	v_subrev_nc_u32_e32 v9, s18, v7
	v_cmp_le_u32_e32 vcc_lo, s18, v7
	v_cndmask_b32_e32 v7, v7, v9, vcc_lo
	v_cndmask_b32_e32 v4, v4, v8, vcc_lo
	v_cmp_le_u32_e32 vcc_lo, s18, v7
	v_add_nc_u32_e32 v8, 1, v4
	v_cndmask_b32_e32 v7, v4, v8, vcc_lo
	v_mov_b32_e32 v8, v3
.LBB0_6:                                ;   in Loop: Header=BB0_2 Depth=1
	s_or_b32 exec_lo, exec_lo, s0
	s_load_dwordx2 s[0:1], s[6:7], 0x0
	v_mul_lo_u32 v4, v8, s18
	v_mul_lo_u32 v11, v7, s19
	v_mad_u64_u32 v[9:10], null, v7, s18, 0
	s_add_u32 s16, s16, 1
	s_addc_u32 s17, s17, 0
	s_add_u32 s6, s6, 8
	s_addc_u32 s7, s7, 0
	;; [unrolled: 2-line block ×3, first 2 shown]
	v_add3_u32 v4, v10, v11, v4
	v_sub_co_u32 v5, vcc_lo, v5, v9
	v_sub_co_ci_u32_e32 v4, vcc_lo, v6, v4, vcc_lo
	s_waitcnt lgkmcnt(0)
	v_mul_lo_u32 v6, s1, v5
	v_mul_lo_u32 v4, s0, v4
	v_mad_u64_u32 v[1:2], null, s0, v5, v[1:2]
	v_cmp_ge_u64_e64 s0, s[16:17], s[10:11]
	s_and_b32 vcc_lo, exec_lo, s0
	v_add3_u32 v2, v6, v2, v4
	s_cbranch_vccnz .LBB0_9
; %bb.7:                                ;   in Loop: Header=BB0_2 Depth=1
	v_mov_b32_e32 v5, v7
	v_mov_b32_e32 v6, v8
	s_branch .LBB0_2
.LBB0_8:
	v_mov_b32_e32 v8, v6
	v_mov_b32_e32 v7, v5
.LBB0_9:
	s_lshl_b64 s[0:1], s[10:11], 3
	v_mul_hi_u32 v3, 0x4924925, v0
	s_add_u32 s0, s12, s0
	s_addc_u32 s1, s13, s1
	s_load_dwordx2 s[0:1], s[0:1], 0x0
	s_load_dwordx2 s[4:5], s[4:5], 0x20
	v_mul_u32_u24_e32 v3, 56, v3
	s_waitcnt lgkmcnt(0)
	v_mul_lo_u32 v4, s0, v8
	v_mul_lo_u32 v5, s1, v7
	v_mad_u64_u32 v[1:2], null, s0, v7, v[1:2]
	v_cmp_gt_u64_e32 vcc_lo, s[4:5], v[7:8]
	v_add3_u32 v2, v5, v2, v4
	v_sub_nc_u32_e32 v4, v0, v3
	v_mov_b32_e32 v5, 0
	v_lshlrev_b64 v[80:81], 4, v[1:2]
	v_mov_b32_e32 v82, v4
	s_and_saveexec_b32 s1, vcc_lo
	s_cbranch_execz .LBB0_13
; %bb.10:
	v_lshlrev_b64 v[0:1], 4, v[4:5]
	v_add_co_u32 v2, s0, s2, v80
	v_add_co_ci_u32_e64 v3, s0, s3, v81, s0
	v_or_b32_e32 v24, 0x1c0, v4
	v_add_co_u32 v0, s0, v2, v0
	v_add_co_ci_u32_e64 v1, s0, v3, v1, s0
	v_mov_b32_e32 v25, v5
	v_add_co_u32 v22, s0, 0x800, v0
	v_add_co_ci_u32_e64 v23, s0, 0, v1, s0
	v_add_co_u32 v30, s0, 0x1000, v0
	v_lshlrev_b64 v[24:25], 4, v[24:25]
	v_add_co_ci_u32_e64 v31, s0, 0, v1, s0
	s_clause 0x3
	global_load_dwordx4 v[6:9], v[0:1], off
	global_load_dwordx4 v[10:13], v[0:1], off offset:896
	global_load_dwordx4 v[14:17], v[0:1], off offset:1792
	;; [unrolled: 1-line block ×3, first 2 shown]
	v_add_co_u32 v0, s0, 0x1800, v0
	v_add_co_ci_u32_e64 v1, s0, 0, v1, s0
	v_add_co_u32 v38, s0, v2, v24
	v_add_co_ci_u32_e64 v39, s0, v3, v25, s0
	s_clause 0x5
	global_load_dwordx4 v[22:25], v[22:23], off offset:1536
	global_load_dwordx4 v[26:29], v[30:31], off offset:384
	;; [unrolled: 1-line block ×4, first 2 shown]
	global_load_dwordx4 v[38:41], v[38:39], off
	global_load_dwordx4 v[42:45], v[0:1], off offset:1920
	v_mov_b32_e32 v0, v4
	v_lshl_add_u32 v46, v4, 4, 0
	v_mov_b32_e32 v1, v5
	s_mov_b32 s4, exec_lo
	s_waitcnt vmcnt(9)
	ds_write_b128 v46, v[6:9]
	s_waitcnt vmcnt(8)
	ds_write_b128 v46, v[10:13] offset:896
	s_waitcnt vmcnt(7)
	ds_write_b128 v46, v[14:17] offset:1792
	;; [unrolled: 2-line block ×9, first 2 shown]
	v_cmpx_eq_u32_e32 55, v4
	s_cbranch_execz .LBB0_12
; %bb.11:
	v_add_co_u32 v0, s0, 0x2000, v2
	v_add_co_ci_u32_e64 v1, s0, 0, v3, s0
	v_mov_b32_e32 v2, 0
	v_mov_b32_e32 v4, 55
	global_load_dwordx4 v[5:8], v[0:1], off offset:768
	v_mov_b32_e32 v0, 55
	v_mov_b32_e32 v1, 0
	s_waitcnt vmcnt(0)
	ds_write_b128 v2, v[5:8] offset:8960
.LBB0_12:
	s_or_b32 exec_lo, exec_lo, s4
	v_mov_b32_e32 v82, v4
	v_mov_b32_e32 v5, v1
	;; [unrolled: 1-line block ×3, first 2 shown]
.LBB0_13:
	s_or_b32 exec_lo, exec_lo, s1
	v_lshlrev_b32_e32 v0, 4, v82
	s_waitcnt lgkmcnt(0)
	s_barrier
	buffer_gl0_inv
	v_lshlrev_b64 v[84:85], 4, v[4:5]
	v_add_nc_u32_e32 v88, 0, v0
	v_sub_nc_u32_e32 v6, 0, v0
	s_add_u32 s1, s8, 0x2280
	s_addc_u32 s4, s9, 0
	s_mov_b32 s5, exec_lo
	ds_read_b64 v[2:3], v88
	ds_read_b64 v[7:8], v6 offset:8960
	s_waitcnt lgkmcnt(0)
	v_add_f64 v[0:1], v[2:3], v[7:8]
	v_add_f64 v[2:3], v[2:3], -v[7:8]
	v_cmpx_ne_u32_e32 0, v82
	s_xor_b32 s5, exec_lo, s5
	s_cbranch_execz .LBB0_15
; %bb.14:
	v_add_co_u32 v4, s0, s1, v84
	v_add_co_ci_u32_e64 v5, s0, s4, v85, s0
	global_load_dwordx4 v[7:10], v[4:5], off
	ds_read_b64 v[4:5], v6 offset:8968
	ds_read_b64 v[11:12], v88 offset:8
	s_waitcnt lgkmcnt(0)
	v_add_f64 v[13:14], v[4:5], v[11:12]
	v_add_f64 v[4:5], v[11:12], -v[4:5]
	s_waitcnt vmcnt(0)
	v_fma_f64 v[11:12], v[2:3], v[9:10], v[0:1]
	v_fma_f64 v[15:16], v[13:14], v[9:10], v[4:5]
	v_fma_f64 v[0:1], -v[2:3], v[9:10], v[0:1]
	v_fma_f64 v[4:5], v[13:14], v[9:10], -v[4:5]
	v_fma_f64 v[9:10], -v[13:14], v[7:8], v[11:12]
	v_fma_f64 v[11:12], v[2:3], v[7:8], v[15:16]
	v_fma_f64 v[0:1], v[13:14], v[7:8], v[0:1]
	;; [unrolled: 1-line block ×3, first 2 shown]
	ds_write_b128 v88, v[9:12]
	ds_write_b128 v6, v[0:3] offset:8960
                                        ; implicit-def: $vgpr0_vgpr1
.LBB0_15:
	s_andn2_saveexec_b32 s0, s5
	s_cbranch_execz .LBB0_17
; %bb.16:
	v_mov_b32_e32 v4, 0
	ds_write_b128 v88, v[0:3]
	ds_read_b128 v[0:3], v4 offset:4480
	s_waitcnt lgkmcnt(0)
	v_add_f64 v[0:1], v[0:1], v[0:1]
	v_mul_f64 v[2:3], v[2:3], -2.0
	ds_write_b128 v4, v[0:3] offset:4480
.LBB0_17:
	s_or_b32 exec_lo, exec_lo, s0
	v_mov_b32_e32 v83, 0
	s_mov_b32 s5, 0x3fe6a09e
	v_lshlrev_b64 v[86:87], 4, v[82:83]
	v_add_nc_u32_e32 v83, 56, v82
	v_add_co_u32 v4, s0, s1, v86
	v_add_co_ci_u32_e64 v5, s0, s4, v87, s0
	s_clause 0x1
	global_load_dwordx4 v[0:3], v[4:5], off offset:896
	global_load_dwordx4 v[7:10], v[4:5], off offset:1792
	v_add_co_u32 v4, s0, 0x800, v4
	v_add_co_ci_u32_e64 v5, s0, 0, v5, s0
	s_mov_b32 s0, 0x667f3bcd
	s_mov_b32 s1, 0xbfe6a09e
	;; [unrolled: 1-line block ×3, first 2 shown]
	global_load_dwordx4 v[11:14], v[4:5], off offset:640
	ds_read_b128 v[15:18], v88 offset:896
	ds_read_b128 v[19:22], v6 offset:8064
	global_load_dwordx4 v[23:26], v[4:5], off offset:1536
	s_waitcnt lgkmcnt(0)
	v_add_f64 v[4:5], v[15:16], v[19:20]
	v_add_f64 v[27:28], v[21:22], v[17:18]
	v_add_f64 v[19:20], v[15:16], -v[19:20]
	v_add_f64 v[15:16], v[17:18], -v[21:22]
	s_waitcnt vmcnt(3)
	v_fma_f64 v[17:18], v[19:20], v[2:3], v[4:5]
	v_fma_f64 v[21:22], v[27:28], v[2:3], v[15:16]
	v_fma_f64 v[29:30], -v[19:20], v[2:3], v[4:5]
	v_fma_f64 v[31:32], v[27:28], v[2:3], -v[15:16]
	v_fma_f64 v[2:3], -v[27:28], v[0:1], v[17:18]
	v_fma_f64 v[4:5], v[19:20], v[0:1], v[21:22]
	v_fma_f64 v[15:16], v[27:28], v[0:1], v[29:30]
	v_fma_f64 v[17:18], v[19:20], v[0:1], v[31:32]
	ds_write_b128 v88, v[2:5] offset:896
	ds_write_b128 v6, v[15:18] offset:8064
	ds_read_b128 v[0:3], v88 offset:1792
	ds_read_b128 v[15:18], v6 offset:7168
	s_waitcnt lgkmcnt(0)
	v_add_f64 v[4:5], v[0:1], v[15:16]
	v_add_f64 v[19:20], v[17:18], v[2:3]
	v_add_f64 v[21:22], v[0:1], -v[15:16]
	v_add_f64 v[0:1], v[2:3], -v[17:18]
	s_waitcnt vmcnt(2)
	v_fma_f64 v[2:3], v[21:22], v[9:10], v[4:5]
	v_fma_f64 v[15:16], v[19:20], v[9:10], v[0:1]
	v_fma_f64 v[4:5], -v[21:22], v[9:10], v[4:5]
	v_fma_f64 v[9:10], v[19:20], v[9:10], -v[0:1]
	v_fma_f64 v[0:1], -v[19:20], v[7:8], v[2:3]
	v_fma_f64 v[2:3], v[21:22], v[7:8], v[15:16]
	v_fma_f64 v[15:16], v[19:20], v[7:8], v[4:5]
	v_fma_f64 v[17:18], v[21:22], v[7:8], v[9:10]
	ds_write_b128 v88, v[0:3] offset:1792
	ds_write_b128 v6, v[15:18] offset:7168
	ds_read_b128 v[0:3], v88 offset:2688
	ds_read_b128 v[7:10], v6 offset:6272
	;; [unrolled: 18-line block ×3, first 2 shown]
	s_waitcnt lgkmcnt(0)
	v_add_f64 v[4:5], v[0:1], v[7:8]
	v_add_f64 v[11:12], v[9:10], v[2:3]
	v_add_f64 v[13:14], v[0:1], -v[7:8]
	v_add_f64 v[0:1], v[2:3], -v[9:10]
	s_waitcnt vmcnt(0)
	v_fma_f64 v[2:3], v[13:14], v[25:26], v[4:5]
	v_fma_f64 v[7:8], v[11:12], v[25:26], v[0:1]
	v_fma_f64 v[4:5], -v[13:14], v[25:26], v[4:5]
	v_fma_f64 v[9:10], v[11:12], v[25:26], -v[0:1]
	v_fma_f64 v[0:1], -v[11:12], v[23:24], v[2:3]
	v_fma_f64 v[2:3], v[13:14], v[23:24], v[7:8]
	v_fma_f64 v[7:8], v[11:12], v[23:24], v[4:5]
	;; [unrolled: 1-line block ×3, first 2 shown]
	ds_write_b128 v88, v[0:3] offset:3584
	ds_write_b128 v6, v[7:10] offset:5376
	s_waitcnt lgkmcnt(0)
	s_barrier
	buffer_gl0_inv
	s_barrier
	buffer_gl0_inv
	ds_read_b128 v[0:3], v88 offset:4480
	ds_read_b128 v[4:7], v88
	ds_read_b128 v[8:11], v88 offset:2240
	ds_read_b128 v[12:15], v88 offset:6720
	ds_read_b128 v[16:19], v88 offset:5600
	ds_read_b128 v[20:23], v88 offset:1120
	ds_read_b128 v[24:27], v88 offset:7840
	ds_read_b128 v[28:31], v88 offset:3360
	ds_read_b128 v[32:35], v88 offset:2016
	ds_read_b128 v[36:39], v88 offset:6496
	ds_read_b128 v[40:43], v88 offset:4256
	ds_read_b128 v[44:47], v88 offset:8736
	ds_read_b128 v[48:51], v88 offset:896
	ds_read_b128 v[52:55], v88 offset:5376
	ds_read_b128 v[56:59], v88 offset:3136
	ds_read_b128 v[60:63], v88 offset:7616
	s_waitcnt lgkmcnt(0)
	s_barrier
	buffer_gl0_inv
	v_add_f64 v[0:1], v[4:5], -v[0:1]
	v_add_f64 v[2:3], v[6:7], -v[2:3]
	;; [unrolled: 1-line block ×16, first 2 shown]
	v_fma_f64 v[4:5], v[4:5], 2.0, -v[0:1]
	v_fma_f64 v[6:7], v[6:7], 2.0, -v[2:3]
	;; [unrolled: 1-line block ×8, first 2 shown]
	v_add_f64 v[14:15], v[0:1], -v[14:15]
	v_add_f64 v[12:13], v[2:3], v[12:13]
	v_add_f64 v[64:65], v[36:37], -v[46:47]
	v_add_f64 v[66:67], v[38:39], v[44:45]
	v_fma_f64 v[48:49], v[48:49], 2.0, -v[52:53]
	v_fma_f64 v[50:51], v[50:51], 2.0, -v[54:55]
	;; [unrolled: 1-line block ×8, first 2 shown]
	v_add_f64 v[62:63], v[52:53], -v[62:63]
	v_add_f64 v[60:61], v[54:55], v[60:61]
	v_add_f64 v[26:27], v[16:17], -v[26:27]
	v_add_f64 v[24:25], v[18:19], v[24:25]
	v_add_f64 v[8:9], v[4:5], -v[8:9]
	v_add_f64 v[10:11], v[6:7], -v[10:11]
	v_fma_f64 v[68:69], v[0:1], 2.0, -v[14:15]
	v_fma_f64 v[70:71], v[2:3], 2.0, -v[12:13]
	v_fma_f64 v[72:73], v[36:37], 2.0, -v[64:65]
	v_fma_f64 v[74:75], v[38:39], 2.0, -v[66:67]
	v_add_f64 v[0:1], v[20:21], -v[28:29]
	v_add_f64 v[2:3], v[22:23], -v[30:31]
	;; [unrolled: 1-line block ×6, first 2 shown]
	v_fma_f64 v[76:77], v[52:53], 2.0, -v[62:63]
	v_fma_f64 v[78:79], v[54:55], 2.0, -v[60:61]
	;; [unrolled: 1-line block ×4, first 2 shown]
	v_fma_f64 v[40:41], v[24:25], s[4:5], v[12:13]
	v_fma_f64 v[42:43], v[26:27], s[4:5], v[14:15]
	v_fma_f64 v[44:45], v[66:67], s[4:5], v[60:61]
	v_fma_f64 v[46:47], v[64:65], s[4:5], v[62:63]
	v_fma_f64 v[4:5], v[4:5], 2.0, -v[8:9]
	v_fma_f64 v[6:7], v[6:7], 2.0, -v[10:11]
	;; [unrolled: 1-line block ×6, first 2 shown]
	v_add_f64 v[36:37], v[8:9], -v[2:3]
	v_add_f64 v[38:39], v[10:11], v[0:1]
	v_fma_f64 v[48:49], v[32:33], 2.0, -v[28:29]
	v_fma_f64 v[50:51], v[34:35], 2.0, -v[30:31]
	v_fma_f64 v[93:94], v[72:73], s[0:1], v[76:77]
	v_fma_f64 v[95:96], v[74:75], s[0:1], v[78:79]
	;; [unrolled: 1-line block ×6, first 2 shown]
	v_add_f64 v[32:33], v[56:57], -v[30:31]
	v_add_f64 v[34:35], v[58:59], v[28:29]
	v_fma_f64 v[28:29], v[66:67], s[0:1], v[46:47]
	v_fma_f64 v[30:31], v[64:65], s[4:5], v[44:45]
	v_mad_u32_u24 v64, 0x70, v82, v88
	v_add_f64 v[40:41], v[4:5], -v[20:21]
	v_add_f64 v[42:43], v[6:7], -v[22:23]
	;; [unrolled: 1-line block ×4, first 2 shown]
	v_fma_f64 v[24:25], v[74:75], s[0:1], v[93:94]
	v_fma_f64 v[26:27], v[72:73], s[4:5], v[95:96]
	;; [unrolled: 1-line block ×4, first 2 shown]
	v_fma_f64 v[48:49], v[8:9], 2.0, -v[36:37]
	v_fma_f64 v[50:51], v[10:11], 2.0, -v[38:39]
	;; [unrolled: 1-line block ×8, first 2 shown]
	s_mov_b32 s1, exec_lo
	v_fma_f64 v[56:57], v[4:5], 2.0, -v[40:41]
	v_fma_f64 v[58:59], v[6:7], 2.0, -v[42:43]
	;; [unrolled: 1-line block ×8, first 2 shown]
	ds_write_b128 v64, v[36:39] offset:96
	ds_write_b128 v64, v[48:51] offset:32
	;; [unrolled: 1-line block ×5, first 2 shown]
	ds_write_b128 v64, v[56:59]
	ds_write_b128 v64, v[60:63] offset:16
	ds_write_b128 v64, v[0:3] offset:112
	v_cmpx_gt_u32_e32 14, v82
	s_cbranch_execz .LBB0_19
; %bb.18:
	v_lshl_add_u32 v36, v83, 7, 0
	ds_write_b128 v36, v[4:7]
	ds_write_b128 v36, v[12:15] offset:16
	ds_write_b128 v36, v[8:11] offset:32
	;; [unrolled: 1-line block ×7, first 2 shown]
.LBB0_19:
	s_or_b32 exec_lo, exec_lo, s1
	s_waitcnt lgkmcnt(0)
	s_barrier
	buffer_gl0_inv
	ds_read_b128 v[36:39], v88
	ds_read_b128 v[72:75], v88 offset:1280
	ds_read_b128 v[68:71], v88 offset:2560
	;; [unrolled: 1-line block ×6, first 2 shown]
	v_cmp_gt_u32_e64 s0, 24, v82
	s_and_saveexec_b32 s1, s0
	s_cbranch_execz .LBB0_21
; %bb.20:
	ds_read_b128 v[0:3], v88 offset:896
	ds_read_b128 v[4:7], v88 offset:2176
	;; [unrolled: 1-line block ×7, first 2 shown]
.LBB0_21:
	s_or_b32 exec_lo, exec_lo, s1
	v_and_b32_e32 v89, 7, v82
	s_mov_b32 s10, 0x37e14327
	s_mov_b32 s14, 0xe976ee23
	s_mov_b32 s11, 0x3fe948f6
	s_mov_b32 s15, 0xbfe11646
	v_mul_u32_u24_e32 v28, 6, v89
	s_mov_b32 s6, 0x429ad128
	s_mov_b32 s4, 0x36b3c0b5
	;; [unrolled: 1-line block ×4, first 2 shown]
	v_lshlrev_b32_e32 v44, 4, v28
	s_mov_b32 s12, 0xaaaaaaaa
	s_mov_b32 s20, 0xb247c609
	;; [unrolled: 1-line block ×4, first 2 shown]
	s_clause 0x5
	global_load_dwordx4 v[28:31], v44, s[8:9]
	global_load_dwordx4 v[32:35], v44, s[8:9] offset:16
	global_load_dwordx4 v[40:43], v44, s[8:9] offset:80
	;; [unrolled: 1-line block ×5, first 2 shown]
	s_mov_b32 s21, 0x3fd5d0dc
	s_mov_b32 s17, 0x3fe77f67
	s_mov_b32 s19, 0xbfe77f67
	s_mov_b32 s23, 0xbfd5d0dc
	s_mov_b32 s18, s16
	s_mov_b32 s22, s20
	s_mov_b32 s24, 0x37c3f68c
	s_mov_b32 s25, 0x3fdc38aa
	s_waitcnt vmcnt(0) lgkmcnt(0)
	s_barrier
	buffer_gl0_inv
	v_mul_f64 v[90:91], v[74:75], v[30:31]
	v_mul_f64 v[92:93], v[72:73], v[30:31]
	;; [unrolled: 1-line block ×12, first 2 shown]
	v_fma_f64 v[72:73], v[72:73], v[28:29], -v[90:91]
	v_fma_f64 v[74:75], v[74:75], v[28:29], v[92:93]
	v_fma_f64 v[68:69], v[68:69], v[32:33], -v[94:95]
	v_fma_f64 v[70:71], v[70:71], v[32:33], v[96:97]
	;; [unrolled: 2-line block ×6, first 2 shown]
	v_add_f64 v[90:91], v[72:73], v[76:77]
	v_add_f64 v[92:93], v[74:75], v[78:79]
	;; [unrolled: 1-line block ×4, first 2 shown]
	v_add_f64 v[64:65], v[68:69], -v[64:65]
	v_add_f64 v[66:67], v[70:71], -v[66:67]
	v_add_f64 v[68:69], v[60:61], v[56:57]
	v_add_f64 v[70:71], v[62:63], v[58:59]
	v_add_f64 v[56:57], v[56:57], -v[60:61]
	v_add_f64 v[58:59], v[58:59], -v[62:63]
	;; [unrolled: 1-line block ×4, first 2 shown]
	v_add_f64 v[72:73], v[94:95], v[90:91]
	v_add_f64 v[74:75], v[96:97], v[92:93]
	v_add_f64 v[76:77], v[90:91], -v[68:69]
	v_add_f64 v[78:79], v[92:93], -v[70:71]
	v_add_f64 v[98:99], v[56:57], -v[64:65]
	v_add_f64 v[100:101], v[58:59], -v[66:67]
	v_add_f64 v[102:103], v[64:65], -v[60:61]
	v_add_f64 v[104:105], v[66:67], -v[62:63]
	v_add_f64 v[64:65], v[56:57], v[64:65]
	v_add_f64 v[66:67], v[58:59], v[66:67]
	v_add_f64 v[56:57], v[60:61], -v[56:57]
	v_add_f64 v[58:59], v[62:63], -v[58:59]
	;; [unrolled: 1-line block ×4, first 2 shown]
	v_add_f64 v[72:73], v[68:69], v[72:73]
	v_add_f64 v[74:75], v[70:71], v[74:75]
	v_add_f64 v[68:69], v[68:69], -v[94:95]
	v_add_f64 v[70:71], v[70:71], -v[96:97]
	v_mul_f64 v[76:77], v[76:77], s[10:11]
	v_mul_f64 v[78:79], v[78:79], s[10:11]
	;; [unrolled: 1-line block ×6, first 2 shown]
	v_add_f64 v[60:61], v[64:65], v[60:61]
	v_add_f64 v[62:63], v[66:67], v[62:63]
	;; [unrolled: 1-line block ×4, first 2 shown]
	v_mul_f64 v[94:95], v[68:69], s[4:5]
	v_mul_f64 v[96:97], v[70:71], s[4:5]
	v_fma_f64 v[64:65], v[68:69], s[4:5], v[76:77]
	v_fma_f64 v[66:67], v[70:71], s[4:5], v[78:79]
	;; [unrolled: 1-line block ×4, first 2 shown]
	v_fma_f64 v[98:99], v[102:103], s[6:7], -v[98:99]
	v_fma_f64 v[100:101], v[104:105], s[6:7], -v[100:101]
	;; [unrolled: 1-line block ×6, first 2 shown]
	v_fma_f64 v[72:73], v[72:73], s[12:13], v[36:37]
	v_fma_f64 v[74:75], v[74:75], s[12:13], v[38:39]
	v_fma_f64 v[90:91], v[90:91], s[16:17], -v[94:95]
	v_fma_f64 v[92:93], v[92:93], s[16:17], -v[96:97]
	v_fma_f64 v[94:95], v[60:61], s[24:25], v[68:69]
	v_fma_f64 v[96:97], v[62:63], s[24:25], v[70:71]
	;; [unrolled: 1-line block ×6, first 2 shown]
	v_add_f64 v[102:103], v[64:65], v[72:73]
	v_add_f64 v[104:105], v[66:67], v[74:75]
	;; [unrolled: 1-line block ×6, first 2 shown]
	v_lshrrev_b32_e32 v90, 3, v82
	v_mul_u32_u24_e32 v90, 56, v90
	v_or_b32_e32 v90, v90, v89
	v_lshl_add_u32 v90, v90, 4, 0
	v_add_f64 v[56:57], v[96:97], v[102:103]
	v_add_f64 v[58:59], v[104:105], -v[94:95]
	v_add_f64 v[60:61], v[100:101], v[76:77]
	v_add_f64 v[62:63], v[78:79], -v[98:99]
	v_add_f64 v[64:65], v[72:73], -v[68:69]
	v_add_f64 v[66:67], v[70:71], v[74:75]
	v_add_f64 v[68:69], v[68:69], v[72:73]
	v_add_f64 v[70:71], v[74:75], -v[70:71]
	v_add_f64 v[72:73], v[76:77], -v[100:101]
	v_add_f64 v[74:75], v[98:99], v[78:79]
	v_add_f64 v[76:77], v[102:103], -v[96:97]
	v_add_f64 v[78:79], v[94:95], v[104:105]
	ds_write_b128 v90, v[36:39]
	ds_write_b128 v90, v[56:59] offset:128
	ds_write_b128 v90, v[60:63] offset:256
	;; [unrolled: 1-line block ×6, first 2 shown]
	s_and_saveexec_b32 s1, s0
	s_cbranch_execz .LBB0_23
; %bb.22:
	v_mul_f64 v[36:37], v[12:13], v[34:35]
	v_mul_f64 v[38:39], v[20:21], v[54:55]
	;; [unrolled: 1-line block ×12, first 2 shown]
	v_fma_f64 v[14:15], v[14:15], v[32:33], v[36:37]
	v_fma_f64 v[22:23], v[22:23], v[52:53], v[38:39]
	;; [unrolled: 1-line block ×4, first 2 shown]
	v_fma_f64 v[12:13], v[12:13], v[32:33], -v[34:35]
	v_fma_f64 v[20:21], v[20:21], v[52:53], -v[54:55]
	;; [unrolled: 1-line block ×6, first 2 shown]
	v_fma_f64 v[10:11], v[10:11], v[48:49], v[50:51]
	v_fma_f64 v[18:19], v[18:19], v[44:45], v[46:47]
	v_add_f64 v[28:29], v[14:15], v[22:23]
	v_add_f64 v[14:15], v[14:15], -v[22:23]
	v_add_f64 v[30:31], v[6:7], v[26:27]
	v_add_f64 v[6:7], v[6:7], -v[26:27]
	;; [unrolled: 2-line block ×4, first 2 shown]
	v_add_f64 v[36:37], v[16:17], -v[8:9]
	v_add_f64 v[8:9], v[8:9], v[16:17]
	v_add_f64 v[20:21], v[10:11], v[18:19]
	v_add_f64 v[10:11], v[18:19], -v[10:11]
	v_add_f64 v[16:17], v[28:29], v[30:31]
	v_add_f64 v[42:43], v[14:15], -v[6:7]
	;; [unrolled: 2-line block ×3, first 2 shown]
	v_add_f64 v[22:23], v[36:37], -v[12:13]
	v_add_f64 v[26:27], v[34:35], -v[8:9]
	;; [unrolled: 1-line block ×4, first 2 shown]
	v_add_f64 v[12:13], v[36:37], v[12:13]
	v_add_f64 v[36:37], v[4:5], -v[36:37]
	v_add_f64 v[14:15], v[10:11], v[14:15]
	v_add_f64 v[10:11], v[6:7], -v[10:11]
	;; [unrolled: 2-line block ×3, first 2 shown]
	v_add_f64 v[28:29], v[28:29], -v[30:31]
	v_mul_f64 v[46:47], v[42:43], s[6:7]
	v_add_f64 v[18:19], v[8:9], v[18:19]
	v_add_f64 v[8:9], v[8:9], -v[32:33]
	v_mul_f64 v[22:23], v[22:23], s[14:15]
	v_mul_f64 v[26:27], v[26:27], s[10:11]
	v_mul_f64 v[24:25], v[24:25], s[10:11]
	v_mul_f64 v[44:45], v[38:39], s[6:7]
	v_mul_f64 v[40:41], v[40:41], s[14:15]
	v_add_f64 v[32:33], v[32:33], -v[34:35]
	v_add_f64 v[4:5], v[12:13], v[4:5]
	v_add_f64 v[6:7], v[14:15], v[6:7]
	;; [unrolled: 1-line block ×3, first 2 shown]
	v_mul_f64 v[30:31], v[20:21], s[4:5]
	v_add_f64 v[0:1], v[0:1], v[18:19]
	v_mul_f64 v[34:35], v[8:9], s[4:5]
	v_fma_f64 v[12:13], v[36:37], s[20:21], v[22:23]
	v_fma_f64 v[8:9], v[8:9], s[4:5], v[26:27]
	;; [unrolled: 1-line block ×3, first 2 shown]
	v_fma_f64 v[20:21], v[36:37], s[22:23], -v[44:45]
	v_fma_f64 v[22:23], v[38:39], s[6:7], -v[22:23]
	v_fma_f64 v[24:25], v[28:29], s[18:19], -v[24:25]
	v_fma_f64 v[26:27], v[32:33], s[18:19], -v[26:27]
	v_fma_f64 v[36:37], v[42:43], s[6:7], -v[40:41]
	v_fma_f64 v[16:17], v[16:17], s[12:13], v[2:3]
	v_fma_f64 v[28:29], v[28:29], s[16:17], -v[30:31]
	v_fma_f64 v[30:31], v[10:11], s[20:21], v[40:41]
	v_fma_f64 v[10:11], v[10:11], s[22:23], -v[46:47]
	v_fma_f64 v[18:19], v[18:19], s[12:13], v[0:1]
	v_fma_f64 v[32:33], v[32:33], s[16:17], -v[34:35]
	v_fma_f64 v[12:13], v[4:5], s[24:25], v[12:13]
	v_lshrrev_b32_e32 v40, 3, v83
	v_fma_f64 v[20:21], v[4:5], s[24:25], v[20:21]
	v_fma_f64 v[4:5], v[4:5], s[24:25], v[22:23]
	;; [unrolled: 1-line block ×3, first 2 shown]
	v_add_f64 v[34:35], v[14:15], v[16:17]
	v_add_f64 v[22:23], v[24:25], v[16:17]
	;; [unrolled: 1-line block ×3, first 2 shown]
	v_fma_f64 v[28:29], v[6:7], s[24:25], v[30:31]
	v_add_f64 v[38:39], v[8:9], v[18:19]
	v_fma_f64 v[30:31], v[6:7], s[24:25], v[10:11]
	v_add_f64 v[8:9], v[26:27], v[18:19]
	v_add_f64 v[32:33], v[32:33], v[18:19]
	v_add_f64 v[26:27], v[34:35], -v[12:13]
	v_add_f64 v[10:11], v[20:21], v[22:23]
	v_add_f64 v[22:23], v[22:23], -v[20:21]
	v_add_f64 v[14:15], v[16:17], -v[4:5]
	v_add_f64 v[24:25], v[28:29], v[38:39]
	v_add_f64 v[18:19], v[4:5], v[16:17]
	;; [unrolled: 1-line block ×3, first 2 shown]
	v_add_f64 v[16:17], v[32:33], -v[36:37]
	v_add_f64 v[6:7], v[12:13], v[34:35]
	v_add_f64 v[12:13], v[36:37], v[32:33]
	v_add_f64 v[8:9], v[8:9], -v[30:31]
	v_add_f64 v[4:5], v[38:39], -v[28:29]
	v_mul_u32_u24_e32 v28, 56, v40
	v_or_b32_e32 v28, v28, v89
	v_lshl_add_u32 v28, v28, 4, 0
	ds_write_b128 v28, v[0:3]
	ds_write_b128 v28, v[24:27] offset:128
	ds_write_b128 v28, v[20:23] offset:256
	;; [unrolled: 1-line block ×6, first 2 shown]
.LBB0_23:
	s_or_b32 exec_lo, exec_lo, s1
	v_lshlrev_b32_e32 v0, 2, v82
	v_mov_b32_e32 v1, 0
	s_waitcnt lgkmcnt(0)
	s_barrier
	buffer_gl0_inv
	s_mov_b32 s10, 0x134454ff
	v_lshlrev_b64 v[2:3], 4, v[0:1]
	s_mov_b32 s11, 0x3fee6f0e
	s_mov_b32 s13, 0xbfee6f0e
	;; [unrolled: 1-line block ×5, first 2 shown]
	v_add_co_u32 v14, s0, s8, v2
	v_add_co_ci_u32_e64 v15, s0, s9, v3, s0
	v_add_co_u32 v0, s0, s8, v84
	s_clause 0x3
	global_load_dwordx4 v[2:5], v[14:15], off offset:768
	global_load_dwordx4 v[6:9], v[14:15], off offset:784
	;; [unrolled: 1-line block ×4, first 2 shown]
	ds_read_b128 v[18:21], v88 offset:1792
	ds_read_b128 v[22:25], v88 offset:3584
	;; [unrolled: 1-line block ×8, first 2 shown]
	ds_read_b128 v[50:53], v88
	ds_read_b128 v[54:57], v88 offset:896
	v_add_co_ci_u32_e64 v85, s0, s9, v85, s0
	s_mov_b32 s1, 0xbfe2cf23
	s_mov_b32 s0, s6
	;; [unrolled: 1-line block ×4, first 2 shown]
	s_waitcnt vmcnt(0) lgkmcnt(0)
	s_barrier
	buffer_gl0_inv
	v_mul_f64 v[58:59], v[20:21], v[4:5]
	v_mul_f64 v[62:63], v[24:25], v[8:9]
	;; [unrolled: 1-line block ×16, first 2 shown]
	v_fma_f64 v[18:19], v[18:19], v[2:3], -v[58:59]
	v_fma_f64 v[22:23], v[22:23], v[6:7], -v[62:63]
	v_fma_f64 v[24:25], v[24:25], v[6:7], v[64:65]
	v_fma_f64 v[26:27], v[26:27], v[10:11], -v[66:67]
	v_fma_f64 v[28:29], v[28:29], v[10:11], v[68:69]
	v_fma_f64 v[20:21], v[20:21], v[2:3], v[60:61]
	;; [unrolled: 1-line block ×3, first 2 shown]
	v_fma_f64 v[30:31], v[30:31], v[14:15], -v[72:73]
	v_fma_f64 v[34:35], v[34:35], v[2:3], -v[74:75]
	v_fma_f64 v[2:3], v[36:37], v[2:3], v[4:5]
	v_fma_f64 v[4:5], v[38:39], v[6:7], -v[76:77]
	v_fma_f64 v[6:7], v[40:41], v[6:7], v[8:9]
	;; [unrolled: 2-line block ×4, first 2 shown]
	v_add_f64 v[16:17], v[50:51], v[18:19]
	v_add_f64 v[42:43], v[18:19], -v[22:23]
	v_add_f64 v[48:49], v[22:23], -v[18:19]
	v_add_f64 v[36:37], v[22:23], v[26:27]
	v_add_f64 v[62:63], v[24:25], v[28:29]
	;; [unrolled: 1-line block ×5, first 2 shown]
	v_add_f64 v[44:45], v[30:31], -v[26:27]
	v_add_f64 v[76:77], v[54:55], v[34:35]
	v_add_f64 v[103:104], v[56:57], v[2:3]
	v_add_f64 v[38:39], v[20:21], -v[32:33]
	v_add_f64 v[74:75], v[4:5], v[8:9]
	v_add_f64 v[89:90], v[6:7], v[10:11]
	;; [unrolled: 1-line block ×4, first 2 shown]
	v_add_f64 v[58:59], v[26:27], -v[30:31]
	v_add_f64 v[18:19], v[18:19], -v[30:31]
	;; [unrolled: 1-line block ×9, first 2 shown]
	v_fma_f64 v[36:37], v[36:37], -0.5, v[50:51]
	v_fma_f64 v[62:63], v[62:63], -0.5, v[52:53]
	v_add_f64 v[95:96], v[34:35], -v[4:5]
	v_fma_f64 v[52:53], v[70:71], -0.5, v[52:53]
	v_fma_f64 v[46:47], v[46:47], -0.5, v[50:51]
	v_add_f64 v[99:100], v[4:5], -v[34:35]
	v_add_f64 v[34:35], v[34:35], -v[12:13]
	v_add_f64 v[42:43], v[42:43], v[44:45]
	v_add_f64 v[91:92], v[6:7], -v[10:11]
	v_fma_f64 v[74:75], v[74:75], -0.5, v[54:55]
	v_fma_f64 v[44:45], v[89:90], -0.5, v[56:57]
	v_add_f64 v[97:98], v[12:13], -v[8:9]
	v_add_f64 v[105:106], v[4:5], -v[8:9]
	v_add_f64 v[16:17], v[16:17], v[22:23]
	v_fma_f64 v[22:23], v[78:79], -0.5, v[54:55]
	v_fma_f64 v[54:55], v[93:94], -0.5, v[56:57]
	v_add_f64 v[107:108], v[2:3], -v[6:7]
	v_add_f64 v[2:3], v[6:7], -v[2:3]
	;; [unrolled: 1-line block ×3, first 2 shown]
	v_add_f64 v[24:25], v[60:61], v[24:25]
	v_add_f64 v[4:5], v[76:77], v[4:5]
	;; [unrolled: 1-line block ×5, first 2 shown]
	v_fma_f64 v[20:21], v[38:39], s[10:11], v[36:37]
	v_fma_f64 v[36:37], v[38:39], s[12:13], v[36:37]
	;; [unrolled: 1-line block ×3, first 2 shown]
	v_add_f64 v[56:57], v[66:67], v[68:69]
	v_fma_f64 v[68:69], v[40:41], s[12:13], v[46:47]
	v_fma_f64 v[76:77], v[64:65], s[10:11], v[52:53]
	;; [unrolled: 1-line block ×5, first 2 shown]
	v_add_f64 v[50:51], v[14:15], -v[10:11]
	v_fma_f64 v[78:79], v[83:84], s[10:11], v[74:75]
	v_fma_f64 v[93:94], v[34:35], s[12:13], v[44:45]
	v_add_f64 v[101:102], v[8:9], -v[12:13]
	v_add_f64 v[60:61], v[95:96], v[97:98]
	v_fma_f64 v[74:75], v[83:84], s[12:13], v[74:75]
	v_fma_f64 v[89:90], v[91:92], s[12:13], v[22:23]
	;; [unrolled: 1-line block ×6, first 2 shown]
	v_add_f64 v[70:71], v[2:3], v[70:71]
	v_add_f64 v[2:3], v[16:17], v[26:27]
	;; [unrolled: 1-line block ×5, first 2 shown]
	v_fma_f64 v[20:21], v[40:41], s[6:7], v[20:21]
	v_fma_f64 v[24:25], v[40:41], s[0:1], v[36:37]
	;; [unrolled: 1-line block ×8, first 2 shown]
	v_add_f64 v[50:51], v[107:108], v[50:51]
	v_fma_f64 v[52:53], v[91:92], s[6:7], v[78:79]
	v_fma_f64 v[72:73], v[105:106], s[0:1], v[93:94]
	v_add_f64 v[66:67], v[99:100], v[101:102]
	v_fma_f64 v[62:63], v[91:92], s[0:1], v[74:75]
	v_fma_f64 v[64:65], v[83:84], s[6:7], v[89:90]
	;; [unrolled: 1-line block ×6, first 2 shown]
	v_add_f64 v[2:3], v[2:3], v[30:31]
	v_add_f64 v[4:5], v[16:17], v[32:33]
	;; [unrolled: 1-line block ×4, first 2 shown]
	v_fma_f64 v[10:11], v[42:43], s[4:5], v[20:21]
	v_fma_f64 v[14:15], v[42:43], s[4:5], v[24:25]
	v_fma_f64 v[12:13], v[56:57], s[4:5], v[36:37]
	v_fma_f64 v[18:19], v[48:49], s[4:5], v[26:27]
	v_fma_f64 v[20:21], v[58:59], s[4:5], v[40:41]
	v_fma_f64 v[22:23], v[48:49], s[4:5], v[28:29]
	v_fma_f64 v[24:25], v[58:59], s[4:5], v[46:47]
	v_fma_f64 v[16:17], v[56:57], s[4:5], v[38:39]
	v_add_co_u32 v76, s0, s8, v86
	v_fma_f64 v[26:27], v[60:61], s[4:5], v[52:53]
	v_fma_f64 v[28:29], v[50:51], s[4:5], v[72:73]
	;; [unrolled: 1-line block ×8, first 2 shown]
	v_add_co_ci_u32_e64 v77, s0, s9, v87, s0
	v_add_co_u32 v42, s0, 0x1000, v0
	v_add_co_ci_u32_e64 v43, s0, 0, v85, s0
	v_add_co_u32 v44, s0, 0x1000, v76
	;; [unrolled: 2-line block ×3, first 2 shown]
	v_add_co_ci_u32_e64 v47, s0, 0, v77, s0
	ds_write_b128 v88, v[2:5]
	ds_write_b128 v88, v[6:9] offset:4480
	ds_write_b128 v88, v[10:13] offset:896
	;; [unrolled: 1-line block ×9, first 2 shown]
	s_waitcnt lgkmcnt(0)
	s_barrier
	buffer_gl0_inv
	s_clause 0x4
	global_load_dwordx4 v[2:5], v[42:43], off offset:256
	global_load_dwordx4 v[6:9], v[44:45], off offset:1152
	global_load_dwordx4 v[10:13], v[46:47], off
	global_load_dwordx4 v[14:17], v[46:47], off offset:896
	global_load_dwordx4 v[18:21], v[46:47], off offset:1792
	ds_read_b128 v[22:25], v88 offset:4480
	ds_read_b128 v[26:29], v88 offset:5376
	;; [unrolled: 1-line block ×6, first 2 shown]
	ds_read_b128 v[46:49], v88
	ds_read_b128 v[50:53], v88 offset:896
	ds_read_b128 v[54:57], v88 offset:1792
	;; [unrolled: 1-line block ×3, first 2 shown]
	s_waitcnt vmcnt(0) lgkmcnt(0)
	s_barrier
	buffer_gl0_inv
	v_mul_f64 v[62:63], v[24:25], v[4:5]
	v_mul_f64 v[4:5], v[22:23], v[4:5]
	;; [unrolled: 1-line block ×10, first 2 shown]
	v_fma_f64 v[22:23], v[22:23], v[2:3], -v[62:63]
	v_fma_f64 v[4:5], v[24:25], v[2:3], v[4:5]
	v_fma_f64 v[24:25], v[26:27], v[6:7], -v[64:65]
	v_fma_f64 v[8:9], v[28:29], v[6:7], v[8:9]
	;; [unrolled: 2-line block ×5, first 2 shown]
	v_add_f64 v[2:3], v[46:47], -v[22:23]
	v_add_f64 v[4:5], v[48:49], -v[4:5]
	v_add_f64 v[6:7], v[50:51], -v[24:25]
	v_add_f64 v[8:9], v[52:53], -v[8:9]
	v_add_f64 v[10:11], v[54:55], -v[26:27]
	v_add_f64 v[12:13], v[56:57], -v[12:13]
	v_add_f64 v[14:15], v[58:59], -v[28:29]
	v_add_f64 v[16:17], v[60:61], -v[16:17]
	v_add_f64 v[18:19], v[42:43], -v[30:31]
	v_add_f64 v[20:21], v[44:45], -v[20:21]
	v_fma_f64 v[22:23], v[46:47], 2.0, -v[2:3]
	v_fma_f64 v[24:25], v[48:49], 2.0, -v[4:5]
	;; [unrolled: 1-line block ×10, first 2 shown]
	ds_write_b128 v88, v[2:5] offset:4480
	ds_write_b128 v88, v[6:9] offset:5376
	;; [unrolled: 1-line block ×5, first 2 shown]
	ds_write_b128 v88, v[22:25]
	ds_write_b128 v88, v[26:29] offset:896
	ds_write_b128 v88, v[30:33] offset:1792
	;; [unrolled: 1-line block ×4, first 2 shown]
	s_waitcnt lgkmcnt(0)
	s_barrier
	buffer_gl0_inv
	s_and_saveexec_b32 s0, vcc_lo
	s_cbranch_execz .LBB0_25
; %bb.24:
	v_lshl_add_u32 v28, v82, 4, 0
	v_mov_b32_e32 v83, v1
	v_add_nc_u32_e32 v0, 56, v82
	v_add_co_u32 v30, vcc_lo, s2, v80
	ds_read_b128 v[2:5], v28
	ds_read_b128 v[6:9], v28 offset:896
	v_lshlrev_b64 v[10:11], 4, v[82:83]
	v_lshlrev_b64 v[12:13], 4, v[0:1]
	v_add_co_ci_u32_e32 v31, vcc_lo, s3, v81, vcc_lo
	v_add_nc_u32_e32 v0, 0x70, v82
	v_add_co_u32 v20, vcc_lo, v30, v10
	v_add_co_ci_u32_e32 v21, vcc_lo, v31, v11, vcc_lo
	v_add_co_u32 v22, vcc_lo, v30, v12
	v_add_co_ci_u32_e32 v23, vcc_lo, v31, v13, vcc_lo
	v_lshlrev_b64 v[18:19], 4, v[0:1]
	v_add_nc_u32_e32 v0, 0xa8, v82
	ds_read_b128 v[10:13], v28 offset:1792
	ds_read_b128 v[14:17], v28 offset:2688
	s_waitcnt lgkmcnt(3)
	global_store_dwordx4 v[20:21], v[2:5], off
	s_waitcnt lgkmcnt(2)
	global_store_dwordx4 v[22:23], v[6:9], off
	ds_read_b128 v[2:5], v28 offset:3584
	v_lshlrev_b64 v[6:7], 4, v[0:1]
	v_add_nc_u32_e32 v0, 0xe0, v82
	v_add_co_u32 v8, vcc_lo, v30, v18
	v_add_co_ci_u32_e32 v9, vcc_lo, v31, v19, vcc_lo
	v_lshlrev_b64 v[18:19], 4, v[0:1]
	v_add_co_u32 v6, vcc_lo, v30, v6
	v_add_nc_u32_e32 v0, 0x118, v82
	v_add_co_ci_u32_e32 v7, vcc_lo, v31, v7, vcc_lo
	v_add_co_u32 v18, vcc_lo, v30, v18
	v_add_co_ci_u32_e32 v19, vcc_lo, v31, v19, vcc_lo
	v_lshlrev_b64 v[20:21], 4, v[0:1]
	v_add_nc_u32_e32 v0, 0x150, v82
	s_waitcnt lgkmcnt(2)
	global_store_dwordx4 v[8:9], v[10:13], off
	s_waitcnt lgkmcnt(1)
	global_store_dwordx4 v[6:7], v[14:17], off
	;; [unrolled: 2-line block ×3, first 2 shown]
	ds_read_b128 v[6:9], v28 offset:4480
	v_lshlrev_b64 v[2:3], 4, v[0:1]
	v_add_co_u32 v22, vcc_lo, v30, v20
	v_add_nc_u32_e32 v0, 0x188, v82
	v_add_co_ci_u32_e32 v23, vcc_lo, v31, v21, vcc_lo
	v_add_co_u32 v24, vcc_lo, v30, v2
	v_add_co_ci_u32_e32 v25, vcc_lo, v31, v3, vcc_lo
	ds_read_b128 v[2:5], v28 offset:5376
	ds_read_b128 v[10:13], v28 offset:6272
	ds_read_b128 v[14:17], v28 offset:7168
	ds_read_b128 v[18:21], v28 offset:8064
	v_lshlrev_b64 v[26:27], 4, v[0:1]
	v_add_nc_u32_e32 v0, 0x1c0, v82
	v_lshlrev_b64 v[28:29], 4, v[0:1]
	v_add_nc_u32_e32 v0, 0x1f8, v82
	v_add_co_u32 v26, vcc_lo, v30, v26
	v_add_co_ci_u32_e32 v27, vcc_lo, v31, v27, vcc_lo
	v_lshlrev_b64 v[0:1], 4, v[0:1]
	v_add_co_u32 v28, vcc_lo, v30, v28
	v_add_co_ci_u32_e32 v29, vcc_lo, v31, v29, vcc_lo
	v_add_co_u32 v0, vcc_lo, v30, v0
	v_add_co_ci_u32_e32 v1, vcc_lo, v31, v1, vcc_lo
	s_waitcnt lgkmcnt(4)
	global_store_dwordx4 v[22:23], v[6:9], off
	s_waitcnt lgkmcnt(3)
	global_store_dwordx4 v[24:25], v[2:5], off
	;; [unrolled: 2-line block ×5, first 2 shown]
.LBB0_25:
	s_endpgm
	.section	.rodata,"a",@progbits
	.p2align	6, 0x0
	.amdhsa_kernel fft_rtc_fwd_len560_factors_8_7_5_2_wgs_56_tpt_56_dp_ip_CI_unitstride_sbrr_C2R_dirReg
		.amdhsa_group_segment_fixed_size 0
		.amdhsa_private_segment_fixed_size 0
		.amdhsa_kernarg_size 88
		.amdhsa_user_sgpr_count 6
		.amdhsa_user_sgpr_private_segment_buffer 1
		.amdhsa_user_sgpr_dispatch_ptr 0
		.amdhsa_user_sgpr_queue_ptr 0
		.amdhsa_user_sgpr_kernarg_segment_ptr 1
		.amdhsa_user_sgpr_dispatch_id 0
		.amdhsa_user_sgpr_flat_scratch_init 0
		.amdhsa_user_sgpr_private_segment_size 0
		.amdhsa_wavefront_size32 1
		.amdhsa_uses_dynamic_stack 0
		.amdhsa_system_sgpr_private_segment_wavefront_offset 0
		.amdhsa_system_sgpr_workgroup_id_x 1
		.amdhsa_system_sgpr_workgroup_id_y 0
		.amdhsa_system_sgpr_workgroup_id_z 0
		.amdhsa_system_sgpr_workgroup_info 0
		.amdhsa_system_vgpr_workitem_id 0
		.amdhsa_next_free_vgpr 114
		.amdhsa_next_free_sgpr 26
		.amdhsa_reserve_vcc 1
		.amdhsa_reserve_flat_scratch 0
		.amdhsa_float_round_mode_32 0
		.amdhsa_float_round_mode_16_64 0
		.amdhsa_float_denorm_mode_32 3
		.amdhsa_float_denorm_mode_16_64 3
		.amdhsa_dx10_clamp 1
		.amdhsa_ieee_mode 1
		.amdhsa_fp16_overflow 0
		.amdhsa_workgroup_processor_mode 1
		.amdhsa_memory_ordered 1
		.amdhsa_forward_progress 0
		.amdhsa_shared_vgpr_count 0
		.amdhsa_exception_fp_ieee_invalid_op 0
		.amdhsa_exception_fp_denorm_src 0
		.amdhsa_exception_fp_ieee_div_zero 0
		.amdhsa_exception_fp_ieee_overflow 0
		.amdhsa_exception_fp_ieee_underflow 0
		.amdhsa_exception_fp_ieee_inexact 0
		.amdhsa_exception_int_div_zero 0
	.end_amdhsa_kernel
	.text
.Lfunc_end0:
	.size	fft_rtc_fwd_len560_factors_8_7_5_2_wgs_56_tpt_56_dp_ip_CI_unitstride_sbrr_C2R_dirReg, .Lfunc_end0-fft_rtc_fwd_len560_factors_8_7_5_2_wgs_56_tpt_56_dp_ip_CI_unitstride_sbrr_C2R_dirReg
                                        ; -- End function
	.section	.AMDGPU.csdata,"",@progbits
; Kernel info:
; codeLenInByte = 8592
; NumSgprs: 28
; NumVgprs: 114
; ScratchSize: 0
; MemoryBound: 0
; FloatMode: 240
; IeeeMode: 1
; LDSByteSize: 0 bytes/workgroup (compile time only)
; SGPRBlocks: 3
; VGPRBlocks: 14
; NumSGPRsForWavesPerEU: 28
; NumVGPRsForWavesPerEU: 114
; Occupancy: 8
; WaveLimiterHint : 1
; COMPUTE_PGM_RSRC2:SCRATCH_EN: 0
; COMPUTE_PGM_RSRC2:USER_SGPR: 6
; COMPUTE_PGM_RSRC2:TRAP_HANDLER: 0
; COMPUTE_PGM_RSRC2:TGID_X_EN: 1
; COMPUTE_PGM_RSRC2:TGID_Y_EN: 0
; COMPUTE_PGM_RSRC2:TGID_Z_EN: 0
; COMPUTE_PGM_RSRC2:TIDIG_COMP_CNT: 0
	.text
	.p2alignl 6, 3214868480
	.fill 48, 4, 3214868480
	.type	__hip_cuid_8fa37de0ca0f9f94,@object ; @__hip_cuid_8fa37de0ca0f9f94
	.section	.bss,"aw",@nobits
	.globl	__hip_cuid_8fa37de0ca0f9f94
__hip_cuid_8fa37de0ca0f9f94:
	.byte	0                               ; 0x0
	.size	__hip_cuid_8fa37de0ca0f9f94, 1

	.ident	"AMD clang version 19.0.0git (https://github.com/RadeonOpenCompute/llvm-project roc-6.4.0 25133 c7fe45cf4b819c5991fe208aaa96edf142730f1d)"
	.section	".note.GNU-stack","",@progbits
	.addrsig
	.addrsig_sym __hip_cuid_8fa37de0ca0f9f94
	.amdgpu_metadata
---
amdhsa.kernels:
  - .args:
      - .actual_access:  read_only
        .address_space:  global
        .offset:         0
        .size:           8
        .value_kind:     global_buffer
      - .offset:         8
        .size:           8
        .value_kind:     by_value
      - .actual_access:  read_only
        .address_space:  global
        .offset:         16
        .size:           8
        .value_kind:     global_buffer
      - .actual_access:  read_only
        .address_space:  global
        .offset:         24
        .size:           8
        .value_kind:     global_buffer
      - .offset:         32
        .size:           8
        .value_kind:     by_value
      - .actual_access:  read_only
        .address_space:  global
        .offset:         40
        .size:           8
        .value_kind:     global_buffer
      - .actual_access:  read_only
        .address_space:  global
        .offset:         48
        .size:           8
        .value_kind:     global_buffer
      - .offset:         56
        .size:           4
        .value_kind:     by_value
      - .actual_access:  read_only
        .address_space:  global
        .offset:         64
        .size:           8
        .value_kind:     global_buffer
      - .actual_access:  read_only
        .address_space:  global
        .offset:         72
        .size:           8
        .value_kind:     global_buffer
      - .address_space:  global
        .offset:         80
        .size:           8
        .value_kind:     global_buffer
    .group_segment_fixed_size: 0
    .kernarg_segment_align: 8
    .kernarg_segment_size: 88
    .language:       OpenCL C
    .language_version:
      - 2
      - 0
    .max_flat_workgroup_size: 56
    .name:           fft_rtc_fwd_len560_factors_8_7_5_2_wgs_56_tpt_56_dp_ip_CI_unitstride_sbrr_C2R_dirReg
    .private_segment_fixed_size: 0
    .sgpr_count:     28
    .sgpr_spill_count: 0
    .symbol:         fft_rtc_fwd_len560_factors_8_7_5_2_wgs_56_tpt_56_dp_ip_CI_unitstride_sbrr_C2R_dirReg.kd
    .uniform_work_group_size: 1
    .uses_dynamic_stack: false
    .vgpr_count:     114
    .vgpr_spill_count: 0
    .wavefront_size: 32
    .workgroup_processor_mode: 1
amdhsa.target:   amdgcn-amd-amdhsa--gfx1030
amdhsa.version:
  - 1
  - 2
...

	.end_amdgpu_metadata
